;; amdgpu-corpus repo=ROCm/rocFFT kind=compiled arch=gfx1030 opt=O3
	.text
	.amdgcn_target "amdgcn-amd-amdhsa--gfx1030"
	.amdhsa_code_object_version 6
	.protected	fft_rtc_back_len972_factors_3_6_3_6_3_wgs_162_tpt_162_halfLds_dp_ip_CI_unitstride_sbrr_R2C_dirReg ; -- Begin function fft_rtc_back_len972_factors_3_6_3_6_3_wgs_162_tpt_162_halfLds_dp_ip_CI_unitstride_sbrr_R2C_dirReg
	.globl	fft_rtc_back_len972_factors_3_6_3_6_3_wgs_162_tpt_162_halfLds_dp_ip_CI_unitstride_sbrr_R2C_dirReg
	.p2align	8
	.type	fft_rtc_back_len972_factors_3_6_3_6_3_wgs_162_tpt_162_halfLds_dp_ip_CI_unitstride_sbrr_R2C_dirReg,@function
fft_rtc_back_len972_factors_3_6_3_6_3_wgs_162_tpt_162_halfLds_dp_ip_CI_unitstride_sbrr_R2C_dirReg: ; @fft_rtc_back_len972_factors_3_6_3_6_3_wgs_162_tpt_162_halfLds_dp_ip_CI_unitstride_sbrr_R2C_dirReg
; %bb.0:
	s_clause 0x2
	s_load_dwordx4 s[8:11], s[4:5], 0x0
	s_load_dwordx2 s[2:3], s[4:5], 0x50
	s_load_dwordx2 s[12:13], s[4:5], 0x18
	v_mul_u32_u24_e32 v1, 0x195, v0
	v_mov_b32_e32 v3, 0
	v_add_nc_u32_sdwa v5, s6, v1 dst_sel:DWORD dst_unused:UNUSED_PAD src0_sel:DWORD src1_sel:WORD_1
	v_mov_b32_e32 v1, 0
	v_mov_b32_e32 v6, v3
	v_mov_b32_e32 v2, 0
	s_waitcnt lgkmcnt(0)
	v_cmp_lt_u64_e64 s0, s[10:11], 2
	s_and_b32 vcc_lo, exec_lo, s0
	s_cbranch_vccnz .LBB0_8
; %bb.1:
	s_load_dwordx2 s[0:1], s[4:5], 0x10
	v_mov_b32_e32 v1, 0
	s_add_u32 s6, s12, 8
	v_mov_b32_e32 v2, 0
	s_addc_u32 s7, s13, 0
	s_mov_b64 s[16:17], 1
	s_waitcnt lgkmcnt(0)
	s_add_u32 s14, s0, 8
	s_addc_u32 s15, s1, 0
.LBB0_2:                                ; =>This Inner Loop Header: Depth=1
	s_load_dwordx2 s[18:19], s[14:15], 0x0
                                        ; implicit-def: $vgpr9_vgpr10
	s_mov_b32 s0, exec_lo
	s_waitcnt lgkmcnt(0)
	v_or_b32_e32 v4, s19, v6
	v_cmpx_ne_u64_e32 0, v[3:4]
	s_xor_b32 s1, exec_lo, s0
	s_cbranch_execz .LBB0_4
; %bb.3:                                ;   in Loop: Header=BB0_2 Depth=1
	v_cvt_f32_u32_e32 v4, s18
	v_cvt_f32_u32_e32 v7, s19
	s_sub_u32 s0, 0, s18
	s_subb_u32 s20, 0, s19
	v_fmac_f32_e32 v4, 0x4f800000, v7
	v_rcp_f32_e32 v4, v4
	v_mul_f32_e32 v4, 0x5f7ffffc, v4
	v_mul_f32_e32 v7, 0x2f800000, v4
	v_trunc_f32_e32 v7, v7
	v_fmac_f32_e32 v4, 0xcf800000, v7
	v_cvt_u32_f32_e32 v7, v7
	v_cvt_u32_f32_e32 v4, v4
	v_mul_lo_u32 v8, s0, v7
	v_mul_hi_u32 v9, s0, v4
	v_mul_lo_u32 v10, s20, v4
	v_add_nc_u32_e32 v8, v9, v8
	v_mul_lo_u32 v9, s0, v4
	v_add_nc_u32_e32 v8, v8, v10
	v_mul_hi_u32 v10, v4, v9
	v_mul_lo_u32 v11, v4, v8
	v_mul_hi_u32 v12, v4, v8
	v_mul_hi_u32 v13, v7, v9
	v_mul_lo_u32 v9, v7, v9
	v_mul_hi_u32 v14, v7, v8
	v_mul_lo_u32 v8, v7, v8
	v_add_co_u32 v10, vcc_lo, v10, v11
	v_add_co_ci_u32_e32 v11, vcc_lo, 0, v12, vcc_lo
	v_add_co_u32 v9, vcc_lo, v10, v9
	v_add_co_ci_u32_e32 v9, vcc_lo, v11, v13, vcc_lo
	v_add_co_ci_u32_e32 v10, vcc_lo, 0, v14, vcc_lo
	v_add_co_u32 v8, vcc_lo, v9, v8
	v_add_co_ci_u32_e32 v9, vcc_lo, 0, v10, vcc_lo
	v_add_co_u32 v4, vcc_lo, v4, v8
	v_add_co_ci_u32_e32 v7, vcc_lo, v7, v9, vcc_lo
	v_mul_hi_u32 v8, s0, v4
	v_mul_lo_u32 v10, s20, v4
	v_mul_lo_u32 v9, s0, v7
	v_add_nc_u32_e32 v8, v8, v9
	v_mul_lo_u32 v9, s0, v4
	v_add_nc_u32_e32 v8, v8, v10
	v_mul_hi_u32 v10, v4, v9
	v_mul_lo_u32 v11, v4, v8
	v_mul_hi_u32 v12, v4, v8
	v_mul_hi_u32 v13, v7, v9
	v_mul_lo_u32 v9, v7, v9
	v_mul_hi_u32 v14, v7, v8
	v_mul_lo_u32 v8, v7, v8
	v_add_co_u32 v10, vcc_lo, v10, v11
	v_add_co_ci_u32_e32 v11, vcc_lo, 0, v12, vcc_lo
	v_add_co_u32 v9, vcc_lo, v10, v9
	v_add_co_ci_u32_e32 v9, vcc_lo, v11, v13, vcc_lo
	v_add_co_ci_u32_e32 v10, vcc_lo, 0, v14, vcc_lo
	v_add_co_u32 v8, vcc_lo, v9, v8
	v_add_co_ci_u32_e32 v9, vcc_lo, 0, v10, vcc_lo
	v_add_co_u32 v4, vcc_lo, v4, v8
	v_add_co_ci_u32_e32 v11, vcc_lo, v7, v9, vcc_lo
	v_mul_hi_u32 v13, v5, v4
	v_mad_u64_u32 v[9:10], null, v6, v4, 0
	v_mad_u64_u32 v[7:8], null, v5, v11, 0
	;; [unrolled: 1-line block ×3, first 2 shown]
	v_add_co_u32 v4, vcc_lo, v13, v7
	v_add_co_ci_u32_e32 v7, vcc_lo, 0, v8, vcc_lo
	v_add_co_u32 v4, vcc_lo, v4, v9
	v_add_co_ci_u32_e32 v4, vcc_lo, v7, v10, vcc_lo
	v_add_co_ci_u32_e32 v7, vcc_lo, 0, v12, vcc_lo
	v_add_co_u32 v4, vcc_lo, v4, v11
	v_add_co_ci_u32_e32 v9, vcc_lo, 0, v7, vcc_lo
	v_mul_lo_u32 v10, s19, v4
	v_mad_u64_u32 v[7:8], null, s18, v4, 0
	v_mul_lo_u32 v11, s18, v9
	v_sub_co_u32 v7, vcc_lo, v5, v7
	v_add3_u32 v8, v8, v11, v10
	v_sub_nc_u32_e32 v10, v6, v8
	v_subrev_co_ci_u32_e64 v10, s0, s19, v10, vcc_lo
	v_add_co_u32 v11, s0, v4, 2
	v_add_co_ci_u32_e64 v12, s0, 0, v9, s0
	v_sub_co_u32 v13, s0, v7, s18
	v_sub_co_ci_u32_e32 v8, vcc_lo, v6, v8, vcc_lo
	v_subrev_co_ci_u32_e64 v10, s0, 0, v10, s0
	v_cmp_le_u32_e32 vcc_lo, s18, v13
	v_cmp_eq_u32_e64 s0, s19, v8
	v_cndmask_b32_e64 v13, 0, -1, vcc_lo
	v_cmp_le_u32_e32 vcc_lo, s19, v10
	v_cndmask_b32_e64 v14, 0, -1, vcc_lo
	v_cmp_le_u32_e32 vcc_lo, s18, v7
	;; [unrolled: 2-line block ×3, first 2 shown]
	v_cndmask_b32_e64 v15, 0, -1, vcc_lo
	v_cmp_eq_u32_e32 vcc_lo, s19, v10
	v_cndmask_b32_e64 v7, v15, v7, s0
	v_cndmask_b32_e32 v10, v14, v13, vcc_lo
	v_add_co_u32 v13, vcc_lo, v4, 1
	v_add_co_ci_u32_e32 v14, vcc_lo, 0, v9, vcc_lo
	v_cmp_ne_u32_e32 vcc_lo, 0, v10
	v_cndmask_b32_e32 v8, v14, v12, vcc_lo
	v_cndmask_b32_e32 v11, v13, v11, vcc_lo
	v_cmp_ne_u32_e32 vcc_lo, 0, v7
	v_cndmask_b32_e32 v10, v9, v8, vcc_lo
	v_cndmask_b32_e32 v9, v4, v11, vcc_lo
.LBB0_4:                                ;   in Loop: Header=BB0_2 Depth=1
	s_andn2_saveexec_b32 s0, s1
	s_cbranch_execz .LBB0_6
; %bb.5:                                ;   in Loop: Header=BB0_2 Depth=1
	v_cvt_f32_u32_e32 v4, s18
	s_sub_i32 s1, 0, s18
	v_mov_b32_e32 v10, v3
	v_rcp_iflag_f32_e32 v4, v4
	v_mul_f32_e32 v4, 0x4f7ffffe, v4
	v_cvt_u32_f32_e32 v4, v4
	v_mul_lo_u32 v7, s1, v4
	v_mul_hi_u32 v7, v4, v7
	v_add_nc_u32_e32 v4, v4, v7
	v_mul_hi_u32 v4, v5, v4
	v_mul_lo_u32 v7, v4, s18
	v_add_nc_u32_e32 v8, 1, v4
	v_sub_nc_u32_e32 v7, v5, v7
	v_subrev_nc_u32_e32 v9, s18, v7
	v_cmp_le_u32_e32 vcc_lo, s18, v7
	v_cndmask_b32_e32 v7, v7, v9, vcc_lo
	v_cndmask_b32_e32 v4, v4, v8, vcc_lo
	v_cmp_le_u32_e32 vcc_lo, s18, v7
	v_add_nc_u32_e32 v8, 1, v4
	v_cndmask_b32_e32 v9, v4, v8, vcc_lo
.LBB0_6:                                ;   in Loop: Header=BB0_2 Depth=1
	s_or_b32 exec_lo, exec_lo, s0
	s_load_dwordx2 s[0:1], s[6:7], 0x0
	v_mul_lo_u32 v4, v10, s18
	v_mul_lo_u32 v11, v9, s19
	v_mad_u64_u32 v[7:8], null, v9, s18, 0
	s_add_u32 s16, s16, 1
	s_addc_u32 s17, s17, 0
	s_add_u32 s6, s6, 8
	s_addc_u32 s7, s7, 0
	;; [unrolled: 2-line block ×3, first 2 shown]
	v_add3_u32 v4, v8, v11, v4
	v_sub_co_u32 v5, vcc_lo, v5, v7
	v_sub_co_ci_u32_e32 v4, vcc_lo, v6, v4, vcc_lo
	s_waitcnt lgkmcnt(0)
	v_mul_lo_u32 v6, s1, v5
	v_mul_lo_u32 v4, s0, v4
	v_mad_u64_u32 v[1:2], null, s0, v5, v[1:2]
	v_cmp_ge_u64_e64 s0, s[16:17], s[10:11]
	s_and_b32 vcc_lo, exec_lo, s0
	v_add3_u32 v2, v6, v2, v4
	s_cbranch_vccnz .LBB0_9
; %bb.7:                                ;   in Loop: Header=BB0_2 Depth=1
	v_mov_b32_e32 v5, v9
	v_mov_b32_e32 v6, v10
	s_branch .LBB0_2
.LBB0_8:
	v_mov_b32_e32 v10, v6
	v_mov_b32_e32 v9, v5
.LBB0_9:
	s_lshl_b64 s[0:1], s[10:11], 3
	v_mul_hi_u32 v3, 0x1948b10, v0
	s_add_u32 s0, s12, s0
	s_addc_u32 s1, s13, s1
	s_load_dwordx2 s[0:1], s[0:1], 0x0
	s_load_dwordx2 s[4:5], s[4:5], 0x20
	v_mul_u32_u24_e32 v3, 0xa2, v3
	v_sub_nc_u32_e32 v8, v0, v3
	s_waitcnt lgkmcnt(0)
	v_mul_lo_u32 v4, s0, v10
	v_mul_lo_u32 v5, s1, v9
	v_mad_u64_u32 v[1:2], null, s0, v9, v[1:2]
	v_cmp_gt_u64_e32 vcc_lo, s[4:5], v[9:10]
	v_cmp_le_u64_e64 s0, s[4:5], v[9:10]
	v_add_nc_u32_e32 v10, 0xa2, v8
	v_add3_u32 v2, v5, v2, v4
	s_and_saveexec_b32 s1, s0
	s_xor_b32 s0, exec_lo, s1
; %bb.10:
	v_add_nc_u32_e32 v10, 0xa2, v8
; %bb.11:
	s_or_saveexec_b32 s1, s0
	v_lshlrev_b64 v[12:13], 4, v[1:2]
	s_xor_b32 exec_lo, exec_lo, s1
	s_cbranch_execz .LBB0_13
; %bb.12:
	v_mov_b32_e32 v9, 0
	v_add_co_u32 v2, s0, s2, v12
	v_add_co_ci_u32_e64 v3, s0, s3, v13, s0
	v_lshlrev_b64 v[0:1], 4, v[8:9]
	v_lshl_add_u32 v9, v8, 4, 0
	v_add_co_u32 v0, s0, v2, v0
	v_add_co_ci_u32_e64 v1, s0, v3, v1, s0
	v_add_co_u32 v4, s0, 0x800, v0
	v_add_co_ci_u32_e64 v5, s0, 0, v1, s0
	;; [unrolled: 2-line block ×6, first 2 shown]
	s_clause 0x5
	global_load_dwordx4 v[0:3], v[0:1], off
	global_load_dwordx4 v[4:7], v[4:5], off offset:544
	global_load_dwordx4 v[14:17], v[14:15], off offset:1088
	;; [unrolled: 1-line block ×5, first 2 shown]
	s_waitcnt vmcnt(5)
	ds_write_b128 v9, v[0:3]
	s_waitcnt vmcnt(4)
	ds_write_b128 v9, v[4:7] offset:2592
	s_waitcnt vmcnt(3)
	ds_write_b128 v9, v[14:17] offset:5184
	;; [unrolled: 2-line block ×5, first 2 shown]
.LBB0_13:
	s_or_b32 exec_lo, exec_lo, s1
	v_lshlrev_b32_e32 v0, 4, v8
	s_waitcnt lgkmcnt(0)
	s_barrier
	buffer_gl0_inv
	s_mov_b32 s4, 0xe8584caa
	v_add_nc_u32_e32 v18, 0, v0
	s_mov_b32 s5, 0xbfebb67a
	s_mov_b32 s7, 0x3febb67a
	;; [unrolled: 1-line block ×3, first 2 shown]
	s_add_u32 s1, s8, 0x3c90
	ds_read_b128 v[3:6], v18 offset:10368
	ds_read_b128 v[14:17], v18 offset:5184
	;; [unrolled: 1-line block ×4, first 2 shown]
	ds_read_b128 v[27:30], v18
	ds_read_b128 v[31:34], v18 offset:2592
	v_lshl_add_u32 v11, v8, 5, v18
	s_waitcnt lgkmcnt(0)
	s_barrier
	buffer_gl0_inv
	v_add_f64 v[1:2], v[14:15], v[3:4]
	v_add_f64 v[35:36], v[16:17], v[5:6]
	;; [unrolled: 1-line block ×5, first 2 shown]
	v_add_f64 v[43:44], v[16:17], -v[5:6]
	v_add_f64 v[16:17], v[29:30], v[16:17]
	v_add_f64 v[45:46], v[31:32], v[19:20]
	v_add_f64 v[49:50], v[14:15], -v[3:4]
	v_add_f64 v[47:48], v[33:34], v[21:22]
	v_fma_f64 v[27:28], v[1:2], -0.5, v[27:28]
	v_fma_f64 v[29:30], v[35:36], -0.5, v[29:30]
	v_add_f64 v[35:36], v[21:22], -v[25:26]
	v_fma_f64 v[31:32], v[37:38], -0.5, v[31:32]
	v_add_f64 v[37:38], v[19:20], -v[23:24]
	v_fma_f64 v[39:40], v[39:40], -0.5, v[33:34]
	v_and_b32_e32 v2, 0xff, v8
	v_add_f64 v[3:4], v[41:42], v[3:4]
	v_add_f64 v[5:6], v[16:17], v[5:6]
	;; [unrolled: 1-line block ×4, first 2 shown]
	v_mul_lo_u16 v1, 0xab, v2
	v_mad_i32_i24 v19, v10, 48, 0
	v_lshrrev_b16 v9, 9, v1
	v_mov_b32_e32 v1, 5
	v_mul_lo_u16 v7, v9, 3
	v_fma_f64 v[20:21], v[43:44], s[4:5], v[27:28]
	v_fma_f64 v[22:23], v[49:50], s[6:7], v[29:30]
	;; [unrolled: 1-line block ×8, first 2 shown]
	v_sub_nc_u16 v56, v8, v7
	ds_write_b128 v11, v[3:6]
	ds_write_b128 v11, v[20:23] offset:16
	ds_write_b128 v11, v[24:27] offset:32
	ds_write_b128 v19, v[14:17]
	ds_write_b128 v19, v[28:31] offset:16
	ds_write_b128 v19, v[32:35] offset:32
	v_mul_u32_u24_sdwa v7, v56, v1 dst_sel:DWORD dst_unused:UNUSED_PAD src0_sel:BYTE_0 src1_sel:DWORD
	s_waitcnt lgkmcnt(0)
	s_barrier
	buffer_gl0_inv
	v_lshlrev_b32_e32 v11, 5, v10
	v_lshlrev_b32_e32 v36, 4, v7
	s_clause 0x4
	global_load_dwordx4 v[4:7], v36, s[8:9] offset:32
	global_load_dwordx4 v[14:17], v36, s[8:9] offset:64
	global_load_dwordx4 v[20:23], v36, s[8:9]
	global_load_dwordx4 v[24:27], v36, s[8:9] offset:16
	global_load_dwordx4 v[28:31], v36, s[8:9] offset:48
	ds_read_b128 v[32:35], v18 offset:7776
	ds_read_b128 v[36:39], v18 offset:12960
	v_sub_nc_u32_e32 v3, v19, v11
	ds_read_b128 v[40:43], v18 offset:10368
	ds_read_b128 v[44:47], v3
	ds_read_b128 v[48:51], v18 offset:5184
	s_waitcnt vmcnt(4) lgkmcnt(4)
	v_mul_f64 v[52:53], v[34:35], v[6:7]
	v_mul_f64 v[6:7], v[32:33], v[6:7]
	s_waitcnt vmcnt(3) lgkmcnt(3)
	v_mul_f64 v[54:55], v[36:37], v[16:17]
	v_fma_f64 v[32:33], v[32:33], v[4:5], v[52:53]
	v_fma_f64 v[34:35], v[34:35], v[4:5], -v[6:7]
	v_mul_f64 v[4:5], v[38:39], v[16:17]
	s_waitcnt vmcnt(2) lgkmcnt(1)
	v_mul_f64 v[6:7], v[44:45], v[22:23]
	v_fma_f64 v[16:17], v[38:39], v[14:15], -v[54:55]
	s_waitcnt vmcnt(1) lgkmcnt(0)
	v_mul_f64 v[38:39], v[50:51], v[26:27]
	v_mul_f64 v[26:27], v[48:49], v[26:27]
	;; [unrolled: 1-line block ×3, first 2 shown]
	v_fma_f64 v[14:15], v[36:37], v[14:15], v[4:5]
	s_waitcnt vmcnt(0)
	v_mul_f64 v[4:5], v[42:43], v[30:31]
	v_mul_f64 v[30:31], v[40:41], v[30:31]
	v_fma_f64 v[36:37], v[46:47], v[20:21], -v[6:7]
	v_add_f64 v[6:7], v[34:35], v[16:17]
	v_fma_f64 v[38:39], v[48:49], v[24:25], v[38:39]
	v_fma_f64 v[24:25], v[50:51], v[24:25], -v[26:27]
	v_fma_f64 v[20:21], v[44:45], v[20:21], v[22:23]
	v_add_f64 v[46:47], v[34:35], -v[16:17]
	v_add_f64 v[22:23], v[32:33], v[14:15]
	v_fma_f64 v[26:27], v[40:41], v[28:29], v[4:5]
	v_fma_f64 v[28:29], v[42:43], v[28:29], -v[30:31]
	v_add_f64 v[30:31], v[32:33], -v[14:15]
	v_fma_f64 v[40:41], v[6:7], -0.5, v[36:37]
	ds_read_b128 v[4:7], v18
	s_waitcnt lgkmcnt(0)
	s_barrier
	buffer_gl0_inv
	v_fma_f64 v[22:23], v[22:23], -0.5, v[20:21]
	v_add_f64 v[42:43], v[38:39], v[26:27]
	v_add_f64 v[44:45], v[24:25], v[28:29]
	v_add_f64 v[50:51], v[24:25], -v[28:29]
	v_fma_f64 v[48:49], v[30:31], s[6:7], v[40:41]
	v_fma_f64 v[30:31], v[30:31], s[4:5], v[40:41]
	v_add_f64 v[40:41], v[4:5], v[38:39]
	v_add_f64 v[24:25], v[6:7], v[24:25]
	;; [unrolled: 1-line block ×4, first 2 shown]
	v_add_f64 v[38:39], v[38:39], -v[26:27]
	v_fma_f64 v[34:35], v[46:47], s[4:5], v[22:23]
	v_fma_f64 v[4:5], v[42:43], -0.5, v[4:5]
	v_fma_f64 v[6:7], v[44:45], -0.5, v[6:7]
	v_fma_f64 v[22:23], v[46:47], s[6:7], v[22:23]
	v_mul_f64 v[36:37], v[48:49], s[4:5]
	v_mul_f64 v[44:45], v[48:49], 0.5
	v_mul_f64 v[42:43], v[30:31], s[4:5]
	v_mul_f64 v[30:31], v[30:31], -0.5
	v_add_f64 v[26:27], v[40:41], v[26:27]
	v_add_f64 v[24:25], v[24:25], v[28:29]
	;; [unrolled: 1-line block ×4, first 2 shown]
	v_mul_lo_u16 v14, v2, 57
	v_mul_lo_u16 v2, v2, 19
	v_lshrrev_b16 v58, 10, v14
	v_lshrrev_b16 v60, 10, v2
	v_mov_b32_e32 v2, 0x360
	v_fma_f64 v[32:33], v[50:51], s[4:5], v[4:5]
	v_fma_f64 v[40:41], v[38:39], s[6:7], v[6:7]
	;; [unrolled: 1-line block ×3, first 2 shown]
	v_fma_f64 v[36:37], v[34:35], 0.5, v[36:37]
	v_fma_f64 v[34:35], v[34:35], s[6:7], v[44:45]
	v_fma_f64 v[6:7], v[38:39], s[4:5], v[6:7]
	v_fma_f64 v[38:39], v[22:23], -0.5, v[42:43]
	v_fma_f64 v[42:43], v[22:23], s[6:7], v[30:31]
	v_mov_b32_e32 v44, 0xe38f
	v_add_f64 v[14:15], v[26:27], v[20:21]
	v_add_f64 v[16:17], v[24:25], v[28:29]
	v_add_f64 v[20:21], v[26:27], -v[20:21]
	v_add_f64 v[22:23], v[24:25], -v[28:29]
	v_mul_lo_u16 v61, v60, 54
	v_mul_u32_u24_sdwa v2, v58, v2 dst_sel:DWORD dst_unused:UNUSED_PAD src0_sel:WORD_0 src1_sel:DWORD
	v_add_f64 v[24:25], v[32:33], v[36:37]
	v_add_f64 v[26:27], v[40:41], v[34:35]
	v_add_f64 v[32:33], v[32:33], -v[36:37]
	v_add_f64 v[28:29], v[4:5], v[38:39]
	v_add_f64 v[30:31], v[6:7], v[42:43]
	v_add_f64 v[34:35], v[40:41], -v[34:35]
	v_add_f64 v[36:37], v[4:5], -v[38:39]
	;; [unrolled: 1-line block ×3, first 2 shown]
	v_mov_b32_e32 v5, 0x120
	v_mov_b32_e32 v4, 4
	v_mul_lo_u16 v6, v58, 18
	v_mul_u32_u24_sdwa v7, v10, v44 dst_sel:DWORD dst_unused:UNUSED_PAD src0_sel:WORD_0 src1_sel:DWORD
	v_mul_u32_u24_sdwa v5, v9, v5 dst_sel:DWORD dst_unused:UNUSED_PAD src0_sel:WORD_0 src1_sel:DWORD
	v_lshlrev_b32_sdwa v9, v4, v56 dst_sel:DWORD dst_unused:UNUSED_PAD src0_sel:DWORD src1_sel:BYTE_0
	v_sub_nc_u16 v59, v8, v6
	v_lshrrev_b32_e32 v7, 20, v7
	v_add3_u32 v5, 0, v5, v9
	v_lshlrev_b32_sdwa v6, v1, v59 dst_sel:DWORD dst_unused:UNUSED_PAD src0_sel:DWORD src1_sel:BYTE_0
	ds_write_b128 v5, v[14:17]
	ds_write_b128 v5, v[20:23] offset:144
	ds_write_b128 v5, v[24:27] offset:48
	;; [unrolled: 1-line block ×5, first 2 shown]
	s_waitcnt lgkmcnt(0)
	s_barrier
	buffer_gl0_inv
	global_load_dwordx4 v[14:17], v6, s[8:9] offset:240
	v_mul_lo_u16 v5, v7, 18
	v_sub_nc_u16 v9, v10, v5
	v_lshlrev_b32_sdwa v5, v1, v9 dst_sel:DWORD dst_unused:UNUSED_PAD src0_sel:DWORD src1_sel:WORD_0
	s_clause 0x2
	global_load_dwordx4 v[20:23], v6, s[8:9] offset:256
	global_load_dwordx4 v[24:27], v5, s[8:9] offset:240
	;; [unrolled: 1-line block ×3, first 2 shown]
	ds_read_b128 v[32:35], v18 offset:5184
	ds_read_b128 v[36:39], v18 offset:10368
	;; [unrolled: 1-line block ×4, first 2 shown]
	s_waitcnt vmcnt(3) lgkmcnt(3)
	v_mul_f64 v[5:6], v[34:35], v[16:17]
	v_mul_f64 v[16:17], v[32:33], v[16:17]
	s_waitcnt vmcnt(2) lgkmcnt(2)
	v_mul_f64 v[48:49], v[38:39], v[22:23]
	v_mul_f64 v[22:23], v[36:37], v[22:23]
	s_waitcnt vmcnt(1) lgkmcnt(1)
	v_mul_f64 v[50:51], v[42:43], v[26:27]
	s_waitcnt vmcnt(0) lgkmcnt(0)
	v_mul_f64 v[52:53], v[46:47], v[30:31]
	v_fma_f64 v[5:6], v[32:33], v[14:15], v[5:6]
	v_fma_f64 v[32:33], v[34:35], v[14:15], -v[16:17]
	v_mul_f64 v[14:15], v[40:41], v[26:27]
	v_mul_f64 v[16:17], v[44:45], v[30:31]
	v_fma_f64 v[26:27], v[36:37], v[20:21], v[48:49]
	v_fma_f64 v[30:31], v[38:39], v[20:21], -v[22:23]
	v_fma_f64 v[34:35], v[40:41], v[24:25], v[50:51]
	v_fma_f64 v[36:37], v[44:45], v[28:29], v[52:53]
	v_fma_f64 v[24:25], v[42:43], v[24:25], -v[14:15]
	v_fma_f64 v[28:29], v[46:47], v[28:29], -v[16:17]
	ds_read_b128 v[14:17], v18
	ds_read_b128 v[20:23], v3
	s_waitcnt lgkmcnt(0)
	s_barrier
	buffer_gl0_inv
	v_add_f64 v[38:39], v[5:6], v[26:27]
	v_add_f64 v[40:41], v[32:33], v[30:31]
	v_add_f64 v[48:49], v[32:33], -v[30:31]
	v_add_f64 v[42:43], v[34:35], v[36:37]
	v_add_f64 v[56:57], v[34:35], -v[36:37]
	v_add_f64 v[46:47], v[14:15], v[5:6]
	v_add_f64 v[32:33], v[16:17], v[32:33]
	;; [unrolled: 1-line block ×3, first 2 shown]
	v_add_f64 v[5:6], v[5:6], -v[26:27]
	v_add_f64 v[52:53], v[22:23], v[24:25]
	v_add_f64 v[50:51], v[20:21], v[34:35]
	v_add_f64 v[54:55], v[24:25], -v[28:29]
	v_fma_f64 v[38:39], v[38:39], -0.5, v[14:15]
	v_fma_f64 v[40:41], v[40:41], -0.5, v[16:17]
	;; [unrolled: 1-line block ×3, first 2 shown]
	v_add_f64 v[14:15], v[46:47], v[26:27]
	v_add_f64 v[16:17], v[32:33], v[30:31]
	v_fma_f64 v[44:45], v[44:45], -0.5, v[22:23]
	v_add_f64 v[22:23], v[52:53], v[28:29]
	v_add_f64 v[20:21], v[50:51], v[36:37]
	v_fma_f64 v[24:25], v[48:49], s[4:5], v[38:39]
	v_fma_f64 v[26:27], v[5:6], s[6:7], v[40:41]
	;; [unrolled: 1-line block ×6, first 2 shown]
	v_lshlrev_b32_sdwa v6, v4, v59 dst_sel:DWORD dst_unused:UNUSED_PAD src0_sel:DWORD src1_sel:BYTE_0
	v_mul_u32_u24_e32 v5, 0x360, v7
	v_lshlrev_b32_sdwa v7, v4, v9 dst_sel:DWORD dst_unused:UNUSED_PAD src0_sel:DWORD src1_sel:WORD_0
	v_add3_u32 v2, 0, v2, v6
	v_fma_f64 v[34:35], v[56:57], s[6:7], v[44:45]
	v_fma_f64 v[38:39], v[56:57], s[4:5], v[44:45]
	v_sub_nc_u16 v56, v8, v61
	v_add3_u32 v5, 0, v5, v7
	ds_write_b128 v2, v[14:17]
	ds_write_b128 v2, v[24:27] offset:288
	ds_write_b128 v2, v[28:31] offset:576
	ds_write_b128 v5, v[20:23]
	ds_write_b128 v5, v[32:35] offset:288
	ds_write_b128 v5, v[36:39] offset:576
	v_mul_u32_u24_sdwa v1, v56, v1 dst_sel:DWORD dst_unused:UNUSED_PAD src0_sel:BYTE_0 src1_sel:DWORD
	s_waitcnt lgkmcnt(0)
	s_barrier
	buffer_gl0_inv
	v_mov_b32_e32 v7, 0x1440
	v_lshlrev_b32_e32 v1, 4, v1
	s_clause 0x4
	global_load_dwordx4 v[14:17], v1, s[8:9] offset:848
	global_load_dwordx4 v[20:23], v1, s[8:9] offset:880
	;; [unrolled: 1-line block ×5, first 2 shown]
	ds_read_b128 v[36:39], v18 offset:7776
	ds_read_b128 v[40:43], v18 offset:12960
	;; [unrolled: 1-line block ×3, first 2 shown]
	ds_read_b128 v[48:51], v3
	ds_read_b128 v[52:55], v18 offset:5184
	v_mul_u32_u24_sdwa v7, v60, v7 dst_sel:DWORD dst_unused:UNUSED_PAD src0_sel:WORD_0 src1_sel:DWORD
	v_lshlrev_b32_sdwa v4, v4, v56 dst_sel:DWORD dst_unused:UNUSED_PAD src0_sel:DWORD src1_sel:BYTE_0
	v_add3_u32 v4, 0, v7, v4
	s_waitcnt vmcnt(4) lgkmcnt(4)
	v_mul_f64 v[1:2], v[38:39], v[16:17]
	v_mul_f64 v[5:6], v[36:37], v[16:17]
	s_waitcnt vmcnt(3) lgkmcnt(3)
	v_mul_f64 v[16:17], v[40:41], v[22:23]
	v_mul_f64 v[22:23], v[42:43], v[22:23]
	v_fma_f64 v[1:2], v[36:37], v[14:15], v[1:2]
	v_fma_f64 v[5:6], v[38:39], v[14:15], -v[5:6]
	s_waitcnt vmcnt(2) lgkmcnt(1)
	v_mul_f64 v[14:15], v[48:49], v[26:27]
	v_fma_f64 v[36:37], v[42:43], v[20:21], -v[16:17]
	s_waitcnt vmcnt(1) lgkmcnt(0)
	v_mul_f64 v[16:17], v[54:55], v[30:31]
	v_mul_f64 v[30:31], v[52:53], v[30:31]
	s_waitcnt vmcnt(0)
	v_mul_f64 v[38:39], v[46:47], v[34:35]
	v_fma_f64 v[20:21], v[40:41], v[20:21], v[22:23]
	v_mul_f64 v[22:23], v[44:45], v[34:35]
	v_mul_f64 v[26:27], v[50:51], v[26:27]
	v_fma_f64 v[34:35], v[50:51], v[24:25], -v[14:15]
	v_add_f64 v[14:15], v[5:6], v[36:37]
	v_fma_f64 v[40:41], v[52:53], v[28:29], v[16:17]
	v_fma_f64 v[28:29], v[54:55], v[28:29], -v[30:31]
	v_fma_f64 v[30:31], v[44:45], v[32:33], v[38:39]
	v_fma_f64 v[22:23], v[46:47], v[32:33], -v[22:23]
	v_fma_f64 v[24:25], v[48:49], v[24:25], v[26:27]
	v_add_f64 v[26:27], v[1:2], v[20:21]
	v_add_f64 v[32:33], v[1:2], -v[20:21]
	v_add_f64 v[46:47], v[5:6], -v[36:37]
	v_add_f64 v[5:6], v[34:35], v[5:6]
	v_fma_f64 v[38:39], v[14:15], -0.5, v[34:35]
	ds_read_b128 v[14:17], v18
	s_waitcnt lgkmcnt(0)
	v_add_f64 v[42:43], v[40:41], v[30:31]
	s_barrier
	v_add_f64 v[44:45], v[28:29], v[22:23]
	v_add_f64 v[50:51], v[28:29], -v[22:23]
	v_fma_f64 v[26:27], v[26:27], -0.5, v[24:25]
	v_add_f64 v[24:25], v[24:25], v[1:2]
	v_lshlrev_b32_e32 v1, 1, v8
	v_mov_b32_e32 v2, 0
	buffer_gl0_inv
	v_add_f64 v[28:29], v[16:17], v[28:29]
	v_fma_f64 v[48:49], v[32:33], s[6:7], v[38:39]
	v_fma_f64 v[32:33], v[32:33], s[4:5], v[38:39]
	v_add_f64 v[38:39], v[14:15], v[40:41]
	v_add_f64 v[40:41], v[40:41], -v[30:31]
	v_fma_f64 v[14:15], v[42:43], -0.5, v[14:15]
	v_fma_f64 v[16:17], v[44:45], -0.5, v[16:17]
	v_add_f64 v[5:6], v[5:6], v[36:37]
	v_fma_f64 v[34:35], v[46:47], s[4:5], v[26:27]
	v_fma_f64 v[26:27], v[46:47], s[6:7], v[26:27]
	v_add_f64 v[20:21], v[24:25], v[20:21]
	v_add_f64 v[22:23], v[28:29], v[22:23]
	v_mul_f64 v[42:43], v[48:49], s[4:5]
	v_mul_f64 v[46:47], v[48:49], 0.5
	v_mul_f64 v[44:45], v[32:33], s[4:5]
	v_mul_f64 v[32:33], v[32:33], -0.5
	v_add_f64 v[30:31], v[38:39], v[30:31]
	v_fma_f64 v[36:37], v[50:51], s[4:5], v[14:15]
	v_fma_f64 v[38:39], v[50:51], s[6:7], v[14:15]
	;; [unrolled: 1-line block ×4, first 2 shown]
	v_lshlrev_b64 v[48:49], 4, v[1:2]
	v_lshlrev_b32_e32 v1, 1, v10
	v_lshlrev_b64 v[52:53], 4, v[1:2]
	v_add_co_u32 v1, s0, s8, v48
	v_add_co_ci_u32_e64 v9, s0, s9, v49, s0
	v_add_f64 v[16:17], v[22:23], v[5:6]
	v_fma_f64 v[42:43], v[34:35], 0.5, v[42:43]
	v_fma_f64 v[34:35], v[34:35], s[6:7], v[46:47]
	v_fma_f64 v[44:45], v[26:27], -0.5, v[44:45]
	v_fma_f64 v[46:47], v[26:27], s[6:7], v[32:33]
	v_add_f64 v[14:15], v[30:31], v[20:21]
	v_add_f64 v[20:21], v[30:31], -v[20:21]
	v_add_f64 v[22:23], v[22:23], -v[5:6]
	v_add_co_u32 v48, s0, 0x1410, v1
	v_add_co_ci_u32_e64 v49, s0, 0, v9, s0
	v_add_co_u32 v54, s0, 0x1000, v1
	v_add_co_ci_u32_e64 v55, s0, 0, v9, s0
	;; [unrolled: 2-line block ×3, first 2 shown]
	v_add_f64 v[24:25], v[36:37], v[42:43]
	v_add_f64 v[26:27], v[50:51], v[34:35]
	;; [unrolled: 1-line block ×4, first 2 shown]
	v_add_f64 v[32:33], v[36:37], -v[42:43]
	v_add_f64 v[34:35], v[50:51], -v[34:35]
	;; [unrolled: 1-line block ×4, first 2 shown]
	v_add_co_u32 v40, s0, 0x1410, v1
	v_add_co_ci_u32_e64 v41, s0, 0, v5, s0
	v_add_co_u32 v42, s0, 0x1000, v1
	v_add_co_ci_u32_e64 v43, s0, 0, v5, s0
	ds_write_b128 v4, v[14:17]
	ds_write_b128 v4, v[20:23] offset:2592
	ds_write_b128 v4, v[24:27] offset:864
	;; [unrolled: 1-line block ×5, first 2 shown]
	s_waitcnt lgkmcnt(0)
	s_barrier
	buffer_gl0_inv
	s_clause 0x3
	global_load_dwordx4 v[4:7], v[54:55], off offset:1040
	global_load_dwordx4 v[14:17], v[48:49], off offset:16
	;; [unrolled: 1-line block ×4, first 2 shown]
	ds_read_b128 v[28:31], v18 offset:5184
	ds_read_b128 v[32:35], v18 offset:10368
	;; [unrolled: 1-line block ×4, first 2 shown]
	s_waitcnt vmcnt(3) lgkmcnt(3)
	v_mul_f64 v[44:45], v[30:31], v[6:7]
	s_waitcnt vmcnt(2) lgkmcnt(2)
	v_mul_f64 v[46:47], v[34:35], v[16:17]
	v_mul_f64 v[6:7], v[28:29], v[6:7]
	;; [unrolled: 1-line block ×3, first 2 shown]
	s_waitcnt vmcnt(1) lgkmcnt(1)
	v_mul_f64 v[48:49], v[38:39], v[22:23]
	s_waitcnt vmcnt(0) lgkmcnt(0)
	v_mul_f64 v[50:51], v[42:43], v[26:27]
	v_mul_f64 v[22:23], v[36:37], v[22:23]
	;; [unrolled: 1-line block ×3, first 2 shown]
	v_fma_f64 v[28:29], v[28:29], v[4:5], v[44:45]
	v_fma_f64 v[32:33], v[32:33], v[14:15], v[46:47]
	v_fma_f64 v[30:31], v[30:31], v[4:5], -v[6:7]
	v_fma_f64 v[34:35], v[34:35], v[14:15], -v[16:17]
	v_fma_f64 v[36:37], v[36:37], v[20:21], v[48:49]
	v_fma_f64 v[40:41], v[40:41], v[24:25], v[50:51]
	v_fma_f64 v[20:21], v[38:39], v[20:21], -v[22:23]
	v_fma_f64 v[22:23], v[42:43], v[24:25], -v[26:27]
	ds_read_b128 v[4:7], v18
	ds_read_b128 v[14:17], v3
	s_waitcnt lgkmcnt(0)
	s_barrier
	buffer_gl0_inv
	v_add_f64 v[24:25], v[28:29], v[32:33]
	v_add_f64 v[26:27], v[30:31], v[34:35]
	v_add_f64 v[46:47], v[30:31], -v[34:35]
	v_add_f64 v[38:39], v[36:37], v[40:41]
	v_add_f64 v[44:45], v[4:5], v[28:29]
	;; [unrolled: 1-line block ×5, first 2 shown]
	v_add_f64 v[28:29], v[28:29], -v[32:33]
	v_add_f64 v[48:49], v[14:15], v[36:37]
	v_add_f64 v[52:53], v[20:21], -v[22:23]
	v_add_f64 v[36:37], v[36:37], -v[40:41]
	v_fma_f64 v[24:25], v[24:25], -0.5, v[4:5]
	v_fma_f64 v[26:27], v[26:27], -0.5, v[6:7]
	;; [unrolled: 1-line block ×3, first 2 shown]
	v_add_f64 v[4:5], v[44:45], v[32:33]
	v_fma_f64 v[42:43], v[42:43], -0.5, v[16:17]
	v_add_f64 v[6:7], v[30:31], v[34:35]
	v_add_f64 v[16:17], v[50:51], v[22:23]
	v_add_f64 v[14:15], v[48:49], v[40:41]
	v_fma_f64 v[20:21], v[46:47], s[4:5], v[24:25]
	v_fma_f64 v[24:25], v[46:47], s[6:7], v[24:25]
	;; [unrolled: 1-line block ×8, first 2 shown]
	ds_write_b128 v18, v[4:7]
	ds_write_b128 v18, v[20:23] offset:5184
	ds_write_b128 v18, v[24:27] offset:10368
	ds_write_b128 v3, v[14:17]
	ds_write_b128 v3, v[28:31] offset:5184
	ds_write_b128 v3, v[32:35] offset:10368
	s_waitcnt lgkmcnt(0)
	s_barrier
	buffer_gl0_inv
	ds_read_b128 v[4:7], v18
	v_sub_nc_u32_e32 v20, 0, v0
	s_addc_u32 s4, s9, 0
	s_mov_b32 s5, exec_lo
                                        ; implicit-def: $vgpr0_vgpr1
                                        ; implicit-def: $vgpr14_vgpr15
                                        ; implicit-def: $vgpr16_vgpr17
	v_cmpx_ne_u32_e32 0, v8
	s_xor_b32 s5, exec_lo, s5
	s_cbranch_execz .LBB0_15
; %bb.14:
	v_mov_b32_e32 v9, v2
	v_lshlrev_b64 v[0:1], 4, v[8:9]
	v_add_co_u32 v0, s0, s1, v0
	v_add_co_ci_u32_e64 v1, s0, s4, v1, s0
	global_load_dwordx4 v[21:24], v[0:1], off
	ds_read_b128 v[0:3], v20 offset:15552
	s_waitcnt lgkmcnt(0)
	v_add_f64 v[14:15], v[4:5], -v[0:1]
	v_add_f64 v[16:17], v[6:7], v[2:3]
	v_add_f64 v[2:3], v[6:7], -v[2:3]
	v_add_f64 v[0:1], v[4:5], v[0:1]
	v_mul_f64 v[6:7], v[14:15], 0.5
	v_mul_f64 v[4:5], v[16:17], 0.5
	;; [unrolled: 1-line block ×3, first 2 shown]
	s_waitcnt vmcnt(0)
	v_mul_f64 v[14:15], v[6:7], v[23:24]
	v_fma_f64 v[16:17], v[4:5], v[23:24], v[2:3]
	v_fma_f64 v[2:3], v[4:5], v[23:24], -v[2:3]
	v_fma_f64 v[25:26], v[0:1], 0.5, v[14:15]
	v_fma_f64 v[0:1], v[0:1], 0.5, -v[14:15]
	v_fma_f64 v[16:17], -v[21:22], v[6:7], v[16:17]
	v_fma_f64 v[2:3], -v[21:22], v[6:7], v[2:3]
	v_fma_f64 v[14:15], v[4:5], v[21:22], v[25:26]
	v_fma_f64 v[0:1], -v[4:5], v[21:22], v[0:1]
                                        ; implicit-def: $vgpr4_vgpr5
.LBB0_15:
	s_or_saveexec_b32 s0, s5
	v_sub_nc_u32_e32 v9, 0, v11
	s_xor_b32 exec_lo, exec_lo, s0
	s_cbranch_execz .LBB0_17
; %bb.16:
	v_mov_b32_e32 v11, 0
	s_waitcnt lgkmcnt(0)
	v_add_f64 v[14:15], v[4:5], v[6:7]
	v_add_f64 v[0:1], v[4:5], -v[6:7]
	v_mov_b32_e32 v16, 0
	v_mov_b32_e32 v17, 0
	ds_read_b64 v[21:22], v11 offset:7784
	v_mov_b32_e32 v2, v16
	v_mov_b32_e32 v3, v17
	s_waitcnt lgkmcnt(0)
	v_xor_b32_e32 v22, 0x80000000, v22
	ds_write_b64 v11, v[21:22] offset:7784
.LBB0_17:
	s_or_b32 exec_lo, exec_lo, s0
	v_mov_b32_e32 v11, 0
	v_add_nc_u32_e32 v19, v19, v9
	s_waitcnt lgkmcnt(0)
	v_lshlrev_b64 v[4:5], 4, v[10:11]
	v_add_nc_u32_e32 v10, 0x144, v8
	v_lshlrev_b64 v[21:22], 4, v[10:11]
	v_add_co_u32 v4, s0, s1, v4
	v_add_co_ci_u32_e64 v5, s0, s4, v5, s0
	v_add_co_u32 v21, s0, s1, v21
	global_load_dwordx4 v[4:7], v[4:5], off
	v_add_co_ci_u32_e64 v22, s0, s4, v22, s0
	global_load_dwordx4 v[21:24], v[21:22], off
	ds_write2_b64 v18, v[14:15], v[16:17] offset1:1
	ds_write_b128 v20, v[0:3] offset:15552
	ds_read_b128 v[0:3], v19
	ds_read_b128 v[14:17], v20 offset:12960
	s_waitcnt lgkmcnt(0)
	v_add_f64 v[9:10], v[0:1], -v[14:15]
	v_add_f64 v[25:26], v[2:3], v[16:17]
	v_add_f64 v[2:3], v[2:3], -v[16:17]
	v_add_f64 v[0:1], v[0:1], v[14:15]
	v_mul_f64 v[9:10], v[9:10], 0.5
	v_mul_f64 v[16:17], v[25:26], 0.5
	;; [unrolled: 1-line block ×3, first 2 shown]
	s_waitcnt vmcnt(1)
	v_mul_f64 v[14:15], v[9:10], v[6:7]
	v_fma_f64 v[25:26], v[16:17], v[6:7], v[2:3]
	v_fma_f64 v[2:3], v[16:17], v[6:7], -v[2:3]
	v_fma_f64 v[6:7], v[0:1], 0.5, v[14:15]
	v_fma_f64 v[0:1], v[0:1], 0.5, -v[14:15]
	v_fma_f64 v[14:15], -v[4:5], v[9:10], v[25:26]
	v_fma_f64 v[2:3], -v[4:5], v[9:10], v[2:3]
	v_fma_f64 v[6:7], v[16:17], v[4:5], v[6:7]
	v_fma_f64 v[0:1], -v[16:17], v[4:5], v[0:1]
	ds_write_b64 v19, v[14:15] offset:8
	ds_write_b64 v20, v[2:3] offset:12968
	ds_write_b64 v19, v[6:7]
	ds_write_b64 v20, v[0:1] offset:12960
	ds_read_b128 v[0:3], v18 offset:5184
	ds_read_b128 v[4:7], v20 offset:10368
	s_waitcnt lgkmcnt(0)
	v_add_f64 v[9:10], v[0:1], -v[4:5]
	v_add_f64 v[14:15], v[2:3], v[6:7]
	v_add_f64 v[2:3], v[2:3], -v[6:7]
	v_add_f64 v[0:1], v[0:1], v[4:5]
	v_mul_f64 v[6:7], v[9:10], 0.5
	v_mul_f64 v[9:10], v[14:15], 0.5
	v_mul_f64 v[2:3], v[2:3], 0.5
	s_waitcnt vmcnt(0)
	v_mul_f64 v[4:5], v[6:7], v[23:24]
	v_fma_f64 v[14:15], v[9:10], v[23:24], v[2:3]
	v_fma_f64 v[2:3], v[9:10], v[23:24], -v[2:3]
	v_fma_f64 v[16:17], v[0:1], 0.5, v[4:5]
	v_fma_f64 v[0:1], v[0:1], 0.5, -v[4:5]
	v_fma_f64 v[4:5], -v[21:22], v[6:7], v[14:15]
	v_fma_f64 v[2:3], -v[21:22], v[6:7], v[2:3]
	v_fma_f64 v[6:7], v[9:10], v[21:22], v[16:17]
	v_fma_f64 v[0:1], -v[9:10], v[21:22], v[0:1]
	v_add_nc_u32_e32 v9, 0x1000, v18
	ds_write2_b64 v9, v[6:7], v[4:5] offset0:136 offset1:137
	ds_write_b128 v20, v[0:3] offset:10368
	s_waitcnt lgkmcnt(0)
	s_barrier
	buffer_gl0_inv
	s_and_saveexec_b32 s0, vcc_lo
	s_cbranch_execz .LBB0_20
; %bb.18:
	v_mov_b32_e32 v9, v11
	ds_read_b128 v[2:5], v18
	ds_read_b128 v[14:17], v18 offset:2592
	v_add_co_u32 v0, vcc_lo, s2, v12
	v_add_co_ci_u32_e32 v1, vcc_lo, s3, v13, vcc_lo
	v_lshlrev_b64 v[6:7], 4, v[8:9]
	ds_read_b128 v[9:12], v18 offset:5184
	ds_read_b128 v[19:22], v18 offset:7776
	;; [unrolled: 1-line block ×4, first 2 shown]
	v_add_co_u32 v6, vcc_lo, v0, v6
	v_add_co_ci_u32_e32 v7, vcc_lo, v1, v7, vcc_lo
	v_add_co_u32 v31, vcc_lo, 0x800, v6
	v_add_co_ci_u32_e32 v32, vcc_lo, 0, v7, vcc_lo
	s_waitcnt lgkmcnt(5)
	global_store_dwordx4 v[6:7], v[2:5], off
	s_waitcnt lgkmcnt(4)
	global_store_dwordx4 v[31:32], v[14:17], off offset:544
	v_add_co_u32 v2, vcc_lo, 0x1000, v6
	v_add_co_ci_u32_e32 v3, vcc_lo, 0, v7, vcc_lo
	v_add_co_u32 v4, vcc_lo, 0x1800, v6
	v_add_co_ci_u32_e32 v5, vcc_lo, 0, v7, vcc_lo
	;; [unrolled: 2-line block ×4, first 2 shown]
	v_cmp_eq_u32_e32 vcc_lo, 0xa1, v8
	s_waitcnt lgkmcnt(3)
	global_store_dwordx4 v[2:3], v[9:12], off offset:1088
	s_waitcnt lgkmcnt(2)
	global_store_dwordx4 v[4:5], v[19:22], off offset:1632
	;; [unrolled: 2-line block ×4, first 2 shown]
	s_and_b32 exec_lo, exec_lo, vcc_lo
	s_cbranch_execz .LBB0_20
; %bb.19:
	v_mov_b32_e32 v2, 0
	v_add_co_u32 v0, vcc_lo, 0x3800, v0
	v_add_co_ci_u32_e32 v1, vcc_lo, 0, v1, vcc_lo
	ds_read_b128 v[2:5], v2 offset:15552
	s_waitcnt lgkmcnt(0)
	global_store_dwordx4 v[0:1], v[2:5], off offset:1216
.LBB0_20:
	s_endpgm
	.section	.rodata,"a",@progbits
	.p2align	6, 0x0
	.amdhsa_kernel fft_rtc_back_len972_factors_3_6_3_6_3_wgs_162_tpt_162_halfLds_dp_ip_CI_unitstride_sbrr_R2C_dirReg
		.amdhsa_group_segment_fixed_size 0
		.amdhsa_private_segment_fixed_size 0
		.amdhsa_kernarg_size 88
		.amdhsa_user_sgpr_count 6
		.amdhsa_user_sgpr_private_segment_buffer 1
		.amdhsa_user_sgpr_dispatch_ptr 0
		.amdhsa_user_sgpr_queue_ptr 0
		.amdhsa_user_sgpr_kernarg_segment_ptr 1
		.amdhsa_user_sgpr_dispatch_id 0
		.amdhsa_user_sgpr_flat_scratch_init 0
		.amdhsa_user_sgpr_private_segment_size 0
		.amdhsa_wavefront_size32 1
		.amdhsa_uses_dynamic_stack 0
		.amdhsa_system_sgpr_private_segment_wavefront_offset 0
		.amdhsa_system_sgpr_workgroup_id_x 1
		.amdhsa_system_sgpr_workgroup_id_y 0
		.amdhsa_system_sgpr_workgroup_id_z 0
		.amdhsa_system_sgpr_workgroup_info 0
		.amdhsa_system_vgpr_workitem_id 0
		.amdhsa_next_free_vgpr 62
		.amdhsa_next_free_sgpr 21
		.amdhsa_reserve_vcc 1
		.amdhsa_reserve_flat_scratch 0
		.amdhsa_float_round_mode_32 0
		.amdhsa_float_round_mode_16_64 0
		.amdhsa_float_denorm_mode_32 3
		.amdhsa_float_denorm_mode_16_64 3
		.amdhsa_dx10_clamp 1
		.amdhsa_ieee_mode 1
		.amdhsa_fp16_overflow 0
		.amdhsa_workgroup_processor_mode 1
		.amdhsa_memory_ordered 1
		.amdhsa_forward_progress 0
		.amdhsa_shared_vgpr_count 0
		.amdhsa_exception_fp_ieee_invalid_op 0
		.amdhsa_exception_fp_denorm_src 0
		.amdhsa_exception_fp_ieee_div_zero 0
		.amdhsa_exception_fp_ieee_overflow 0
		.amdhsa_exception_fp_ieee_underflow 0
		.amdhsa_exception_fp_ieee_inexact 0
		.amdhsa_exception_int_div_zero 0
	.end_amdhsa_kernel
	.text
.Lfunc_end0:
	.size	fft_rtc_back_len972_factors_3_6_3_6_3_wgs_162_tpt_162_halfLds_dp_ip_CI_unitstride_sbrr_R2C_dirReg, .Lfunc_end0-fft_rtc_back_len972_factors_3_6_3_6_3_wgs_162_tpt_162_halfLds_dp_ip_CI_unitstride_sbrr_R2C_dirReg
                                        ; -- End function
	.section	.AMDGPU.csdata,"",@progbits
; Kernel info:
; codeLenInByte = 5968
; NumSgprs: 23
; NumVgprs: 62
; ScratchSize: 0
; MemoryBound: 0
; FloatMode: 240
; IeeeMode: 1
; LDSByteSize: 0 bytes/workgroup (compile time only)
; SGPRBlocks: 2
; VGPRBlocks: 7
; NumSGPRsForWavesPerEU: 23
; NumVGPRsForWavesPerEU: 62
; Occupancy: 15
; WaveLimiterHint : 1
; COMPUTE_PGM_RSRC2:SCRATCH_EN: 0
; COMPUTE_PGM_RSRC2:USER_SGPR: 6
; COMPUTE_PGM_RSRC2:TRAP_HANDLER: 0
; COMPUTE_PGM_RSRC2:TGID_X_EN: 1
; COMPUTE_PGM_RSRC2:TGID_Y_EN: 0
; COMPUTE_PGM_RSRC2:TGID_Z_EN: 0
; COMPUTE_PGM_RSRC2:TIDIG_COMP_CNT: 0
	.text
	.p2alignl 6, 3214868480
	.fill 48, 4, 3214868480
	.type	__hip_cuid_597995d10a4977f7,@object ; @__hip_cuid_597995d10a4977f7
	.section	.bss,"aw",@nobits
	.globl	__hip_cuid_597995d10a4977f7
__hip_cuid_597995d10a4977f7:
	.byte	0                               ; 0x0
	.size	__hip_cuid_597995d10a4977f7, 1

	.ident	"AMD clang version 19.0.0git (https://github.com/RadeonOpenCompute/llvm-project roc-6.4.0 25133 c7fe45cf4b819c5991fe208aaa96edf142730f1d)"
	.section	".note.GNU-stack","",@progbits
	.addrsig
	.addrsig_sym __hip_cuid_597995d10a4977f7
	.amdgpu_metadata
---
amdhsa.kernels:
  - .args:
      - .actual_access:  read_only
        .address_space:  global
        .offset:         0
        .size:           8
        .value_kind:     global_buffer
      - .offset:         8
        .size:           8
        .value_kind:     by_value
      - .actual_access:  read_only
        .address_space:  global
        .offset:         16
        .size:           8
        .value_kind:     global_buffer
      - .actual_access:  read_only
        .address_space:  global
        .offset:         24
        .size:           8
        .value_kind:     global_buffer
      - .offset:         32
        .size:           8
        .value_kind:     by_value
      - .actual_access:  read_only
        .address_space:  global
        .offset:         40
        .size:           8
        .value_kind:     global_buffer
      - .actual_access:  read_only
        .address_space:  global
        .offset:         48
        .size:           8
        .value_kind:     global_buffer
      - .offset:         56
        .size:           4
        .value_kind:     by_value
      - .actual_access:  read_only
        .address_space:  global
        .offset:         64
        .size:           8
        .value_kind:     global_buffer
      - .actual_access:  read_only
        .address_space:  global
        .offset:         72
        .size:           8
        .value_kind:     global_buffer
      - .address_space:  global
        .offset:         80
        .size:           8
        .value_kind:     global_buffer
    .group_segment_fixed_size: 0
    .kernarg_segment_align: 8
    .kernarg_segment_size: 88
    .language:       OpenCL C
    .language_version:
      - 2
      - 0
    .max_flat_workgroup_size: 162
    .name:           fft_rtc_back_len972_factors_3_6_3_6_3_wgs_162_tpt_162_halfLds_dp_ip_CI_unitstride_sbrr_R2C_dirReg
    .private_segment_fixed_size: 0
    .sgpr_count:     23
    .sgpr_spill_count: 0
    .symbol:         fft_rtc_back_len972_factors_3_6_3_6_3_wgs_162_tpt_162_halfLds_dp_ip_CI_unitstride_sbrr_R2C_dirReg.kd
    .uniform_work_group_size: 1
    .uses_dynamic_stack: false
    .vgpr_count:     62
    .vgpr_spill_count: 0
    .wavefront_size: 32
    .workgroup_processor_mode: 1
amdhsa.target:   amdgcn-amd-amdhsa--gfx1030
amdhsa.version:
  - 1
  - 2
...

	.end_amdgpu_metadata
